;; amdgpu-corpus repo=ROCm/rocFFT kind=compiled arch=gfx1030 opt=O3
	.text
	.amdgcn_target "amdgcn-amd-amdhsa--gfx1030"
	.amdhsa_code_object_version 6
	.protected	fft_rtc_back_len1920_factors_10_6_16_2_wgs_240_tpt_120_halfLds_sp_ip_CI_unitstride_sbrr_R2C_dirReg ; -- Begin function fft_rtc_back_len1920_factors_10_6_16_2_wgs_240_tpt_120_halfLds_sp_ip_CI_unitstride_sbrr_R2C_dirReg
	.globl	fft_rtc_back_len1920_factors_10_6_16_2_wgs_240_tpt_120_halfLds_sp_ip_CI_unitstride_sbrr_R2C_dirReg
	.p2align	8
	.type	fft_rtc_back_len1920_factors_10_6_16_2_wgs_240_tpt_120_halfLds_sp_ip_CI_unitstride_sbrr_R2C_dirReg,@function
fft_rtc_back_len1920_factors_10_6_16_2_wgs_240_tpt_120_halfLds_sp_ip_CI_unitstride_sbrr_R2C_dirReg: ; @fft_rtc_back_len1920_factors_10_6_16_2_wgs_240_tpt_120_halfLds_sp_ip_CI_unitstride_sbrr_R2C_dirReg
; %bb.0:
	s_clause 0x2
	s_load_dwordx4 s[8:11], s[4:5], 0x0
	s_load_dwordx2 s[2:3], s[4:5], 0x50
	s_load_dwordx2 s[12:13], s[4:5], 0x18
	v_mul_u32_u24_e32 v1, 0x223, v0
	v_mov_b32_e32 v3, 0
	v_lshrrev_b32_e32 v9, 16, v1
	v_mov_b32_e32 v1, 0
	v_mov_b32_e32 v6, v3
	v_mov_b32_e32 v2, 0
	v_lshl_add_u32 v5, s6, 1, v9
	s_waitcnt lgkmcnt(0)
	v_cmp_lt_u64_e64 s0, s[10:11], 2
	s_and_b32 vcc_lo, exec_lo, s0
	s_cbranch_vccnz .LBB0_8
; %bb.1:
	s_load_dwordx2 s[0:1], s[4:5], 0x10
	v_mov_b32_e32 v1, 0
	s_add_u32 s6, s12, 8
	v_mov_b32_e32 v2, 0
	s_addc_u32 s7, s13, 0
	s_mov_b64 s[16:17], 1
	s_waitcnt lgkmcnt(0)
	s_add_u32 s14, s0, 8
	s_addc_u32 s15, s1, 0
.LBB0_2:                                ; =>This Inner Loop Header: Depth=1
	s_load_dwordx2 s[18:19], s[14:15], 0x0
                                        ; implicit-def: $vgpr7_vgpr8
	s_mov_b32 s0, exec_lo
	s_waitcnt lgkmcnt(0)
	v_or_b32_e32 v4, s19, v6
	v_cmpx_ne_u64_e32 0, v[3:4]
	s_xor_b32 s1, exec_lo, s0
	s_cbranch_execz .LBB0_4
; %bb.3:                                ;   in Loop: Header=BB0_2 Depth=1
	v_cvt_f32_u32_e32 v4, s18
	v_cvt_f32_u32_e32 v7, s19
	s_sub_u32 s0, 0, s18
	s_subb_u32 s20, 0, s19
	v_fmac_f32_e32 v4, 0x4f800000, v7
	v_rcp_f32_e32 v4, v4
	v_mul_f32_e32 v4, 0x5f7ffffc, v4
	v_mul_f32_e32 v7, 0x2f800000, v4
	v_trunc_f32_e32 v7, v7
	v_fmac_f32_e32 v4, 0xcf800000, v7
	v_cvt_u32_f32_e32 v7, v7
	v_cvt_u32_f32_e32 v4, v4
	v_mul_lo_u32 v8, s0, v7
	v_mul_hi_u32 v10, s0, v4
	v_mul_lo_u32 v11, s20, v4
	v_add_nc_u32_e32 v8, v10, v8
	v_mul_lo_u32 v10, s0, v4
	v_add_nc_u32_e32 v8, v8, v11
	v_mul_hi_u32 v11, v4, v10
	v_mul_lo_u32 v12, v4, v8
	v_mul_hi_u32 v13, v4, v8
	v_mul_hi_u32 v14, v7, v10
	v_mul_lo_u32 v10, v7, v10
	v_mul_hi_u32 v15, v7, v8
	v_mul_lo_u32 v8, v7, v8
	v_add_co_u32 v11, vcc_lo, v11, v12
	v_add_co_ci_u32_e32 v12, vcc_lo, 0, v13, vcc_lo
	v_add_co_u32 v10, vcc_lo, v11, v10
	v_add_co_ci_u32_e32 v10, vcc_lo, v12, v14, vcc_lo
	v_add_co_ci_u32_e32 v11, vcc_lo, 0, v15, vcc_lo
	v_add_co_u32 v8, vcc_lo, v10, v8
	v_add_co_ci_u32_e32 v10, vcc_lo, 0, v11, vcc_lo
	v_add_co_u32 v4, vcc_lo, v4, v8
	v_add_co_ci_u32_e32 v7, vcc_lo, v7, v10, vcc_lo
	v_mul_hi_u32 v8, s0, v4
	v_mul_lo_u32 v11, s20, v4
	v_mul_lo_u32 v10, s0, v7
	v_add_nc_u32_e32 v8, v8, v10
	v_mul_lo_u32 v10, s0, v4
	v_add_nc_u32_e32 v8, v8, v11
	v_mul_hi_u32 v11, v4, v10
	v_mul_lo_u32 v12, v4, v8
	v_mul_hi_u32 v13, v4, v8
	v_mul_hi_u32 v14, v7, v10
	v_mul_lo_u32 v10, v7, v10
	v_mul_hi_u32 v15, v7, v8
	v_mul_lo_u32 v8, v7, v8
	v_add_co_u32 v11, vcc_lo, v11, v12
	v_add_co_ci_u32_e32 v12, vcc_lo, 0, v13, vcc_lo
	v_add_co_u32 v10, vcc_lo, v11, v10
	v_add_co_ci_u32_e32 v10, vcc_lo, v12, v14, vcc_lo
	v_add_co_ci_u32_e32 v11, vcc_lo, 0, v15, vcc_lo
	v_add_co_u32 v8, vcc_lo, v10, v8
	v_add_co_ci_u32_e32 v10, vcc_lo, 0, v11, vcc_lo
	v_add_co_u32 v4, vcc_lo, v4, v8
	v_add_co_ci_u32_e32 v12, vcc_lo, v7, v10, vcc_lo
	v_mul_hi_u32 v14, v5, v4
	v_mad_u64_u32 v[10:11], null, v6, v4, 0
	v_mad_u64_u32 v[7:8], null, v5, v12, 0
	;; [unrolled: 1-line block ×3, first 2 shown]
	v_add_co_u32 v4, vcc_lo, v14, v7
	v_add_co_ci_u32_e32 v7, vcc_lo, 0, v8, vcc_lo
	v_add_co_u32 v4, vcc_lo, v4, v10
	v_add_co_ci_u32_e32 v4, vcc_lo, v7, v11, vcc_lo
	v_add_co_ci_u32_e32 v7, vcc_lo, 0, v13, vcc_lo
	v_add_co_u32 v4, vcc_lo, v4, v12
	v_add_co_ci_u32_e32 v10, vcc_lo, 0, v7, vcc_lo
	v_mul_lo_u32 v11, s19, v4
	v_mad_u64_u32 v[7:8], null, s18, v4, 0
	v_mul_lo_u32 v12, s18, v10
	v_sub_co_u32 v7, vcc_lo, v5, v7
	v_add3_u32 v8, v8, v12, v11
	v_sub_nc_u32_e32 v11, v6, v8
	v_subrev_co_ci_u32_e64 v11, s0, s19, v11, vcc_lo
	v_add_co_u32 v12, s0, v4, 2
	v_add_co_ci_u32_e64 v13, s0, 0, v10, s0
	v_sub_co_u32 v14, s0, v7, s18
	v_sub_co_ci_u32_e32 v8, vcc_lo, v6, v8, vcc_lo
	v_subrev_co_ci_u32_e64 v11, s0, 0, v11, s0
	v_cmp_le_u32_e32 vcc_lo, s18, v14
	v_cmp_eq_u32_e64 s0, s19, v8
	v_cndmask_b32_e64 v14, 0, -1, vcc_lo
	v_cmp_le_u32_e32 vcc_lo, s19, v11
	v_cndmask_b32_e64 v15, 0, -1, vcc_lo
	v_cmp_le_u32_e32 vcc_lo, s18, v7
	;; [unrolled: 2-line block ×3, first 2 shown]
	v_cndmask_b32_e64 v16, 0, -1, vcc_lo
	v_cmp_eq_u32_e32 vcc_lo, s19, v11
	v_cndmask_b32_e64 v7, v16, v7, s0
	v_cndmask_b32_e32 v11, v15, v14, vcc_lo
	v_add_co_u32 v14, vcc_lo, v4, 1
	v_add_co_ci_u32_e32 v15, vcc_lo, 0, v10, vcc_lo
	v_cmp_ne_u32_e32 vcc_lo, 0, v11
	v_cndmask_b32_e32 v8, v15, v13, vcc_lo
	v_cndmask_b32_e32 v11, v14, v12, vcc_lo
	v_cmp_ne_u32_e32 vcc_lo, 0, v7
	v_cndmask_b32_e32 v8, v10, v8, vcc_lo
	v_cndmask_b32_e32 v7, v4, v11, vcc_lo
.LBB0_4:                                ;   in Loop: Header=BB0_2 Depth=1
	s_andn2_saveexec_b32 s0, s1
	s_cbranch_execz .LBB0_6
; %bb.5:                                ;   in Loop: Header=BB0_2 Depth=1
	v_cvt_f32_u32_e32 v4, s18
	s_sub_i32 s1, 0, s18
	v_rcp_iflag_f32_e32 v4, v4
	v_mul_f32_e32 v4, 0x4f7ffffe, v4
	v_cvt_u32_f32_e32 v4, v4
	v_mul_lo_u32 v7, s1, v4
	v_mul_hi_u32 v7, v4, v7
	v_add_nc_u32_e32 v4, v4, v7
	v_mul_hi_u32 v4, v5, v4
	v_mul_lo_u32 v7, v4, s18
	v_add_nc_u32_e32 v8, 1, v4
	v_sub_nc_u32_e32 v7, v5, v7
	v_subrev_nc_u32_e32 v10, s18, v7
	v_cmp_le_u32_e32 vcc_lo, s18, v7
	v_cndmask_b32_e32 v7, v7, v10, vcc_lo
	v_cndmask_b32_e32 v4, v4, v8, vcc_lo
	v_cmp_le_u32_e32 vcc_lo, s18, v7
	v_add_nc_u32_e32 v8, 1, v4
	v_cndmask_b32_e32 v7, v4, v8, vcc_lo
	v_mov_b32_e32 v8, v3
.LBB0_6:                                ;   in Loop: Header=BB0_2 Depth=1
	s_or_b32 exec_lo, exec_lo, s0
	s_load_dwordx2 s[0:1], s[6:7], 0x0
	v_mul_lo_u32 v4, v8, s18
	v_mul_lo_u32 v12, v7, s19
	v_mad_u64_u32 v[10:11], null, v7, s18, 0
	s_add_u32 s16, s16, 1
	s_addc_u32 s17, s17, 0
	s_add_u32 s6, s6, 8
	s_addc_u32 s7, s7, 0
	;; [unrolled: 2-line block ×3, first 2 shown]
	v_add3_u32 v4, v11, v12, v4
	v_sub_co_u32 v5, vcc_lo, v5, v10
	v_sub_co_ci_u32_e32 v4, vcc_lo, v6, v4, vcc_lo
	s_waitcnt lgkmcnt(0)
	v_mul_lo_u32 v6, s1, v5
	v_mul_lo_u32 v4, s0, v4
	v_mad_u64_u32 v[1:2], null, s0, v5, v[1:2]
	v_cmp_ge_u64_e64 s0, s[16:17], s[10:11]
	s_and_b32 vcc_lo, exec_lo, s0
	v_add3_u32 v2, v6, v2, v4
	s_cbranch_vccnz .LBB0_9
; %bb.7:                                ;   in Loop: Header=BB0_2 Depth=1
	v_mov_b32_e32 v5, v7
	v_mov_b32_e32 v6, v8
	s_branch .LBB0_2
.LBB0_8:
	v_mov_b32_e32 v8, v6
	v_mov_b32_e32 v7, v5
.LBB0_9:
	s_lshl_b64 s[0:1], s[10:11], 3
	v_mul_hi_u32 v3, 0x2222223, v0
	s_add_u32 s0, s12, s0
	s_addc_u32 s1, s13, s1
	v_and_b32_e32 v6, 1, v9
	s_load_dwordx2 s[0:1], s[0:1], 0x0
	s_load_dwordx2 s[4:5], s[4:5], 0x20
	v_mul_u32_u24_e32 v3, 0x78, v3
	v_sub_nc_u32_e32 v34, v0, v3
	v_add_nc_u32_e32 v38, 0x78, v34
	s_waitcnt lgkmcnt(0)
	v_mul_lo_u32 v4, s0, v8
	v_mul_lo_u32 v5, s1, v7
	v_mad_u64_u32 v[1:2], null, s0, v7, v[1:2]
	v_cmp_gt_u64_e32 vcc_lo, s[4:5], v[7:8]
	v_cmp_le_u64_e64 s1, s[4:5], v[7:8]
	v_cmp_eq_u32_e64 s0, 1, v6
	v_add3_u32 v2, v5, v2, v4
	s_and_saveexec_b32 s4, s1
	s_xor_b32 s1, exec_lo, s4
; %bb.10:
	v_add_nc_u32_e32 v38, 0x78, v34
; %bb.11:
	s_or_saveexec_b32 s1, s1
	v_cndmask_b32_e64 v0, 0, 0x781, s0
	v_lshlrev_b64 v[36:37], 3, v[1:2]
	v_lshlrev_b32_e32 v43, 3, v34
	v_lshlrev_b32_e32 v45, 3, v0
	s_xor_b32 exec_lo, exec_lo, s1
	s_cbranch_execz .LBB0_13
; %bb.12:
	v_mov_b32_e32 v35, 0
	v_add_co_u32 v2, s0, s2, v36
	v_add_co_ci_u32_e64 v3, s0, s3, v37, s0
	v_lshlrev_b64 v[0:1], 3, v[34:35]
	v_add3_u32 v32, 0, v45, v43
	v_add_nc_u32_e32 v33, 0x400, v32
	v_add_co_u32 v0, s0, v2, v0
	v_add_co_ci_u32_e64 v1, s0, v3, v1, s0
	v_add_nc_u32_e32 v35, 0xc00, v32
	v_add_co_u32 v2, s0, 0x800, v0
	v_add_co_ci_u32_e64 v3, s0, 0, v1, s0
	v_add_co_u32 v4, s0, 0x1000, v0
	v_add_co_ci_u32_e64 v5, s0, 0, v1, s0
	;; [unrolled: 2-line block ×6, first 2 shown]
	s_clause 0x7
	global_load_dwordx2 v[8:9], v[0:1], off
	global_load_dwordx2 v[10:11], v[0:1], off offset:960
	global_load_dwordx2 v[12:13], v[0:1], off offset:1920
	;; [unrolled: 1-line block ×7, first 2 shown]
	v_add_co_u32 v0, s0, 0x3800, v0
	v_add_co_ci_u32_e64 v1, s0, 0, v1, s0
	s_clause 0x7
	global_load_dwordx2 v[6:7], v[6:7], off offset:1536
	global_load_dwordx2 v[26:27], v[20:21], off offset:448
	;; [unrolled: 1-line block ×8, first 2 shown]
	v_add_nc_u32_e32 v39, 0x1400, v32
	v_add_nc_u32_e32 v40, 0x1c00, v32
	;; [unrolled: 1-line block ×5, first 2 shown]
	s_waitcnt vmcnt(14)
	ds_write2_b64 v32, v[8:9], v[10:11] offset1:120
	s_waitcnt vmcnt(12)
	ds_write2_b64 v33, v[12:13], v[14:15] offset0:112 offset1:232
	s_waitcnt vmcnt(10)
	ds_write2_b64 v35, v[2:3], v[16:17] offset0:96 offset1:216
	;; [unrolled: 2-line block ×7, first 2 shown]
.LBB0_13:
	s_or_b32 exec_lo, exec_lo, s1
	v_add_nc_u32_e32 v0, 0, v43
	s_waitcnt lgkmcnt(0)
	s_barrier
	buffer_gl0_inv
	v_add_nc_u32_e32 v42, 0, v45
	v_add_nc_u32_e32 v44, v0, v45
	s_mov_b32 s1, exec_lo
	v_add_nc_u32_e32 v41, v42, v43
	v_add_nc_u32_e32 v4, 0xc00, v44
	;; [unrolled: 1-line block ×5, first 2 shown]
	ds_read2_b64 v[0:3], v44 offset0:120 offset1:192
	ds_read2_b64 v[8:11], v4 offset0:120 offset1:192
	;; [unrolled: 1-line block ×5, first 2 shown]
	v_add_nc_u32_e32 v15, 0x800, v44
	ds_read2_b64 v[4:7], v15 offset0:56 offset1:128
	s_waitcnt lgkmcnt(4)
	v_add_f32_e32 v12, v2, v10
	s_waitcnt lgkmcnt(3)
	v_sub_f32_e32 v52, v10, v18
	v_sub_f32_e32 v33, v18, v10
	s_waitcnt lgkmcnt(1)
	v_add_f32_e32 v32, v10, v26
	v_sub_f32_e32 v55, v10, v26
	v_add_f32_e32 v10, v0, v8
	v_add_f32_e32 v13, v3, v11
	;; [unrolled: 1-line block ×3, first 2 shown]
	v_sub_f32_e32 v50, v11, v27
	v_sub_f32_e32 v51, v19, v23
	v_add_f32_e32 v10, v10, v16
	v_add_f32_e32 v54, v19, v23
	v_sub_f32_e32 v56, v18, v22
	v_sub_f32_e32 v57, v11, v19
	v_add_f32_e32 v40, v11, v27
	v_sub_f32_e32 v59, v19, v11
	v_add_f32_e32 v11, v12, v18
	v_add_f32_e32 v12, v13, v19
	v_add_f32_e32 v13, v1, v9
	v_add_f32_e32 v63, v10, v20
	v_add_nc_u32_e32 v10, 0x1400, v44
	ds_read_b64 v[18:19], v41
	v_sub_f32_e32 v53, v26, v22
	v_sub_f32_e32 v39, v22, v26
	;; [unrolled: 1-line block ×4, first 2 shown]
	v_add_f32_e32 v61, v16, v20
	v_add_f32_e32 v22, v11, v22
	;; [unrolled: 1-line block ×3, first 2 shown]
	v_sub_f32_e32 v64, v8, v16
	v_sub_f32_e32 v65, v16, v8
	v_add_f32_e32 v46, v13, v17
	v_sub_f32_e32 v67, v16, v20
	ds_read2_b64 v[10:13], v10 offset0:56 offset1:128
	v_add_nc_u32_e32 v16, 0x2000, v44
	v_add_f32_e32 v71, v8, v24
	v_sub_f32_e32 v72, v8, v24
	v_add_nc_u32_e32 v8, 0x2c00, v44
	v_sub_f32_e32 v62, v17, v21
	ds_read2_b64 v[28:31], v16 offset0:56 offset1:128
	v_add_f32_e32 v66, v17, v21
	v_sub_f32_e32 v68, v9, v17
	v_sub_f32_e32 v69, v17, v9
	;; [unrolled: 1-line block ×3, first 2 shown]
	v_add_f32_e32 v73, v9, v25
	v_add_f32_e32 v17, v46, v21
	ds_read2_b64 v[46:49], v8 offset0:56 offset1:128
	ds_read_b64 v[8:9], v44 offset:14784
	v_sub_f32_e32 v74, v24, v20
	v_sub_f32_e32 v75, v20, v24
	v_sub_f32_e32 v76, v25, v21
	v_sub_f32_e32 v77, v21, v25
	s_waitcnt lgkmcnt(4)
	v_add_f32_e32 v20, v18, v6
	v_add_f32_e32 v21, v19, v7
	;; [unrolled: 1-line block ×3, first 2 shown]
	s_waitcnt lgkmcnt(3)
	v_add_f32_e32 v26, v5, v11
	v_add_f32_e32 v23, v23, v27
	;; [unrolled: 1-line block ×7, first 2 shown]
	s_waitcnt lgkmcnt(2)
	v_add_f32_e32 v20, v20, v30
	v_add_f32_e32 v21, v21, v31
	;; [unrolled: 1-line block ×4, first 2 shown]
	v_sub_f32_e32 v27, v13, v31
	s_waitcnt lgkmcnt(1)
	v_sub_f32_e32 v63, v48, v30
	v_sub_f32_e32 v78, v30, v48
	v_add_f32_e32 v79, v13, v31
	v_sub_f32_e32 v80, v12, v30
	v_sub_f32_e32 v83, v29, v47
	;; [unrolled: 1-line block ×4, first 2 shown]
	v_add_f32_e32 v86, v29, v47
	v_sub_f32_e32 v87, v11, v29
	v_sub_f32_e32 v29, v29, v11
	;; [unrolled: 1-line block ×6, first 2 shown]
	s_waitcnt lgkmcnt(0)
	v_sub_f32_e32 v90, v11, v9
	v_add_f32_e32 v91, v10, v8
	v_sub_f32_e32 v92, v10, v8
	v_add_f32_e32 v93, v11, v9
	v_add_f32_e32 v10, v20, v48
	;; [unrolled: 1-line block ×3, first 2 shown]
	v_sub_f32_e32 v20, v7, v49
	v_add_f32_e32 v21, v6, v48
	v_sub_f32_e32 v48, v6, v48
	v_add_f32_e32 v6, v7, v49
	v_fma_f32 v7, -0.5, v40, v3
	v_add_f32_e32 v24, v24, v28
	v_sub_f32_e32 v81, v49, v31
	v_sub_f32_e32 v30, v31, v49
	v_add_f32_e32 v12, v12, v78
	v_fma_f32 v78, -0.5, v79, v19
	v_fmac_f32_e32 v19, -0.5, v6
	v_fma_f32 v6, -0.5, v32, v2
	v_fmamk_f32 v49, v56, 0xbf737871, v7
	v_fmac_f32_e32 v7, 0x3f737871, v56
	v_add_f32_e32 v82, v28, v46
	v_sub_f32_e32 v28, v28, v46
	v_add_f32_e32 v24, v24, v46
	v_sub_f32_e32 v94, v8, v46
	v_sub_f32_e32 v95, v46, v8
	v_add_f32_e32 v46, v59, v60
	v_fmamk_f32 v59, v51, 0x3f737871, v6
	v_fmac_f32_e32 v6, 0xbf737871, v51
	v_fmac_f32_e32 v7, 0xbf167918, v55
	v_add_f32_e32 v60, v33, v39
	v_fmamk_f32 v79, v80, 0xbf737871, v19
	v_fmac_f32_e32 v19, 0x3f737871, v80
	v_fmac_f32_e32 v6, 0x3f167918, v50
	;; [unrolled: 1-line block ×3, first 2 shown]
	v_add_f32_e32 v13, v13, v30
	v_fma_f32 v21, -0.5, v21, v18
	v_fmac_f32_e32 v19, 0xbf167918, v48
	v_fmac_f32_e32 v6, 0x3e9e377a, v60
	v_mul_f32_e32 v30, 0xbe9e377a, v7
	v_mul_f32_e32 v7, 0xbf737871, v7
	v_fma_f32 v3, -0.5, v54, v3
	v_fmac_f32_e32 v19, 0x3e9e377a, v13
	v_sub_f32_e32 v39, v10, v22
	v_fmac_f32_e32 v30, 0x3f737871, v6
	v_fmac_f32_e32 v7, 0xbe9e377a, v6
	v_add_f32_e32 v6, v10, v22
	v_fma_f32 v2, -0.5, v35, v2
	v_fmamk_f32 v10, v55, 0x3f737871, v3
	v_add_f32_e32 v31, v19, v30
	v_sub_f32_e32 v33, v19, v30
	v_fmamk_f32 v19, v27, 0x3f737871, v21
	v_fmac_f32_e32 v21, 0xbf737871, v27
	v_fma_f32 v26, -0.5, v26, v18
	v_sub_f32_e32 v40, v11, v23
	v_add_f32_e32 v18, v57, v58
	v_fmac_f32_e32 v10, 0x3f167918, v56
	v_fmac_f32_e32 v21, 0x3f167918, v20
	v_fmac_f32_e32 v3, 0xbf737871, v55
	v_add_f32_e32 v25, v25, v47
	v_sub_f32_e32 v96, v9, v47
	v_sub_f32_e32 v97, v47, v9
	v_fmac_f32_e32 v21, 0x3e9e377a, v12
	v_fmac_f32_e32 v10, 0x3e9e377a, v18
	v_fmamk_f32 v47, v20, 0xbf737871, v26
	v_fmac_f32_e32 v3, 0xbf167918, v56
	v_fmac_f32_e32 v49, 0x3f167918, v55
	v_add_f32_e32 v30, v21, v7
	v_sub_f32_e32 v32, v21, v7
	v_add_f32_e32 v7, v11, v23
	v_fmamk_f32 v11, v50, 0xbf737871, v2
	v_add_f32_e32 v21, v52, v53
	v_fmac_f32_e32 v2, 0x3f737871, v50
	v_mul_f32_e32 v22, 0xbf167918, v10
	v_add_f32_e32 v23, v88, v63
	v_fmac_f32_e32 v11, 0xbf167918, v51
	v_fmamk_f32 v52, v48, 0x3f737871, v78
	v_fmac_f32_e32 v47, 0xbf167918, v27
	v_fmac_f32_e32 v79, 0x3f167918, v48
	;; [unrolled: 1-line block ×6, first 2 shown]
	v_add_f32_e32 v35, v89, v81
	v_fmac_f32_e32 v52, 0x3f167918, v80
	v_fmac_f32_e32 v22, 0x3f4f1bbd, v11
	v_mul_f32_e32 v53, 0x3f167918, v11
	v_fmac_f32_e32 v47, 0x3e9e377a, v23
	v_fmac_f32_e32 v49, 0x3e9e377a, v46
	;; [unrolled: 1-line block ×8, first 2 shown]
	v_mul_f32_e32 v13, 0xbf167918, v3
	v_mul_f32_e32 v3, 0xbf4f1bbd, v3
	v_fma_f32 v20, -0.5, v66, v1
	v_fmac_f32_e32 v53, 0x3f4f1bbd, v10
	v_fmac_f32_e32 v52, 0x3e9e377a, v35
	v_add_f32_e32 v10, v47, v22
	v_sub_f32_e32 v46, v47, v22
	v_fmac_f32_e32 v59, 0x3e9e377a, v60
	v_mul_f32_e32 v22, 0xbf737871, v49
	v_fmac_f32_e32 v78, 0x3e9e377a, v35
	v_fmac_f32_e32 v3, 0x3f167918, v2
	v_fmamk_f32 v21, v72, 0x3f737871, v20
	v_fmac_f32_e32 v20, 0xbf737871, v72
	v_add_f32_e32 v11, v52, v53
	v_sub_f32_e32 v47, v52, v53
	v_fmac_f32_e32 v19, 0x3e9e377a, v12
	v_mul_f32_e32 v12, 0x3e9e377a, v49
	v_fmac_f32_e32 v22, 0x3e9e377a, v59
	v_fma_f32 v18, -0.5, v61, v0
	v_add_f32_e32 v53, v78, v3
	v_sub_f32_e32 v55, v78, v3
	v_add_f32_e32 v3, v68, v76
	v_fmac_f32_e32 v21, 0x3f167918, v67
	v_fmac_f32_e32 v20, 0xbf167918, v67
	;; [unrolled: 1-line block ×3, first 2 shown]
	v_add_f32_e32 v48, v19, v22
	v_fmac_f32_e32 v26, 0x3f167918, v27
	v_sub_f32_e32 v50, v19, v22
	v_fmamk_f32 v19, v70, 0xbf737871, v18
	v_fmac_f32_e32 v18, 0x3f737871, v70
	v_fma_f32 v0, -0.5, v71, v0
	v_fmac_f32_e32 v21, 0x3e9e377a, v3
	v_fmac_f32_e32 v20, 0x3e9e377a, v3
	v_fma_f32 v3, -0.5, v91, v4
	v_add_f32_e32 v49, v79, v12
	v_fmac_f32_e32 v26, 0x3e9e377a, v23
	v_fmac_f32_e32 v13, 0xbf4f1bbd, v2
	v_sub_f32_e32 v51, v79, v12
	v_add_f32_e32 v2, v64, v74
	v_fmac_f32_e32 v19, 0xbf167918, v62
	v_fmac_f32_e32 v18, 0x3f167918, v62
	v_fmamk_f32 v12, v62, 0x3f737871, v0
	v_fmac_f32_e32 v0, 0xbf737871, v62
	v_fma_f32 v35, -0.5, v82, v4
	v_fmamk_f32 v56, v83, 0x3f737871, v3
	v_fmac_f32_e32 v3, 0xbf737871, v83
	v_fma_f32 v58, -0.5, v86, v5
	v_fmac_f32_e32 v5, -0.5, v93
	v_add_f32_e32 v52, v26, v13
	v_sub_f32_e32 v54, v26, v13
	v_fmac_f32_e32 v19, 0x3e9e377a, v2
	v_fmac_f32_e32 v18, 0x3e9e377a, v2
	v_add_f32_e32 v2, v65, v75
	v_fmac_f32_e32 v12, 0xbf167918, v70
	v_fmac_f32_e32 v1, -0.5, v73
	v_fmac_f32_e32 v0, 0x3f167918, v70
	v_add_f32_e32 v4, v85, v95
	v_fmamk_f32 v57, v90, 0xbf737871, v35
	v_fmac_f32_e32 v56, 0xbf167918, v90
	v_fmac_f32_e32 v3, 0x3f167918, v90
	v_fmamk_f32 v26, v28, 0xbf737871, v5
	v_fmac_f32_e32 v5, 0x3f737871, v28
	v_fmamk_f32 v59, v92, 0x3f737871, v58
	;; [unrolled: 2-line block ×3, first 2 shown]
	v_fmac_f32_e32 v1, 0x3f737871, v67
	v_fmac_f32_e32 v12, 0x3e9e377a, v2
	;; [unrolled: 1-line block ×3, first 2 shown]
	v_add_f32_e32 v2, v84, v94
	v_fmac_f32_e32 v35, 0x3f737871, v90
	v_fmac_f32_e32 v57, 0xbf167918, v83
	;; [unrolled: 1-line block ×4, first 2 shown]
	v_add_f32_e32 v4, v29, v97
	v_fmac_f32_e32 v26, 0x3f167918, v92
	v_fmac_f32_e32 v5, 0xbf167918, v92
	v_add_f32_e32 v27, v87, v96
	v_fmac_f32_e32 v59, 0x3f167918, v28
	v_fmac_f32_e32 v58, 0xbf167918, v28
	;; [unrolled: 3-line block ×3, first 2 shown]
	v_fmac_f32_e32 v35, 0x3f167918, v83
	v_fmac_f32_e32 v26, 0x3e9e377a, v4
	;; [unrolled: 1-line block ×8, first 2 shown]
	v_add_f32_e32 v22, v24, v8
	v_add_f32_e32 v23, v25, v9
	v_mul_f32_e32 v9, 0xbf737871, v26
	v_mul_f32_e32 v25, 0xbf167918, v59
	;; [unrolled: 1-line block ×3, first 2 shown]
	v_fmac_f32_e32 v35, 0x3e9e377a, v2
	v_mul_f32_e32 v60, 0x3e9e377a, v26
	v_mul_f32_e32 v26, 0xbe9e377a, v5
	;; [unrolled: 1-line block ×3, first 2 shown]
	v_mul_u32_u24_e32 v5, 10, v34
	v_mul_f32_e32 v28, 0xbf4f1bbd, v58
	v_mul_f32_e32 v29, 0x3f167918, v57
	v_fmac_f32_e32 v9, 0x3e9e377a, v56
	v_fmac_f32_e32 v25, 0x3f4f1bbd, v57
	;; [unrolled: 1-line block ×6, first 2 shown]
	v_lshl_add_u32 v56, v5, 3, v42
	v_fmac_f32_e32 v28, 0x3f167918, v35
	v_fmac_f32_e32 v29, 0x3f4f1bbd, v59
	v_add_f32_e32 v2, v12, v9
	v_add_f32_e32 v4, v0, v24
	s_barrier
	buffer_gl0_inv
	ds_write2_b64 v56, v[6:7], v[10:11] offset1:1
	v_add_f32_e32 v6, v18, v27
	v_add_f32_e32 v3, v13, v60
	;; [unrolled: 1-line block ×4, first 2 shown]
	v_sub_f32_e32 v8, v16, v22
	v_sub_f32_e32 v12, v12, v9
	;; [unrolled: 1-line block ×6, first 2 shown]
	ds_write2_b64 v56, v[48:49], v[30:31] offset0:2 offset1:3
	ds_write2_b64 v56, v[52:53], v[39:40] offset0:4 offset1:5
	ds_write2_b64 v56, v[46:47], v[50:51] offset0:6 offset1:7
	ds_write2_b64 v56, v[32:33], v[54:55] offset0:8 offset1:9
	v_cmpx_gt_u32_e32 0x48, v34
	s_cbranch_execz .LBB0_15
; %bb.14:
	v_mul_i32_i24_e32 v30, 10, v38
	v_add_f32_e32 v17, v17, v23
	v_add_f32_e32 v16, v16, v22
	v_sub_f32_e32 v1, v1, v26
	v_sub_f32_e32 v18, v18, v27
	v_lshlrev_b32_e32 v31, 3, v30
	v_add_f32_e32 v30, v21, v29
	v_add_f32_e32 v29, v19, v25
	v_sub_f32_e32 v19, v20, v28
	v_sub_f32_e32 v0, v0, v24
	v_add3_u32 v21, 0, v31, v45
	ds_write2_b64 v21, v[16:17], v[29:30] offset1:1
	ds_write2_b64 v21, v[2:3], v[4:5] offset0:2 offset1:3
	ds_write2_b64 v21, v[6:7], v[8:9] offset0:4 offset1:5
	;; [unrolled: 1-line block ×4, first 2 shown]
.LBB0_15:
	s_or_b32 exec_lo, exec_lo, s1
	v_lshlrev_b32_e32 v1, 3, v38
	v_add_nc_u32_e32 v16, 0x1c00, v44
	v_add_nc_u32_e32 v0, 0x1000, v44
	;; [unrolled: 1-line block ×3, first 2 shown]
	s_waitcnt lgkmcnt(0)
	v_add3_u32 v46, 0, v1, v45
	s_barrier
	buffer_gl0_inv
	ds_read2_b64 v[30:33], v15 offset0:64 offset1:184
	ds_read2_b64 v[22:25], v0 offset0:128 offset1:248
	;; [unrolled: 1-line block ×3, first 2 shown]
	ds_read2_b64 v[18:21], v17 offset1:120
	ds_read2_b64 v[14:17], v14 offset0:64 offset1:184
	ds_read_b64 v[39:40], v41
	ds_read_b64 v[0:1], v46
	v_cmp_gt_u32_e64 s0, 0x50, v34
	s_and_saveexec_b32 s1, s0
	s_cbranch_execz .LBB0_17
; %bb.16:
	v_add_nc_u32_e32 v10, 0x180, v44
	ds_read2st64_b64 v[2:5], v10 offset0:3 offset1:8
	ds_read2st64_b64 v[6:9], v10 offset0:13 offset1:18
	;; [unrolled: 1-line block ×3, first 2 shown]
.LBB0_17:
	s_or_b32 exec_lo, exec_lo, s1
	v_and_b32_e32 v35, 0xff, v34
	v_and_b32_e32 v47, 0xff, v38
	v_mov_b32_e32 v49, 5
	v_mul_lo_u16 v35, 0xcd, v35
	v_mul_lo_u16 v47, 0xcd, v47
	v_lshrrev_b16 v35, 11, v35
	v_lshrrev_b16 v67, 11, v47
	v_mul_lo_u16 v48, v35, 10
	v_mul_lo_u16 v47, v67, 10
	v_and_b32_e32 v70, 0xffff, v35
	v_and_b32_e32 v67, 0xffff, v67
	v_mov_b32_e32 v35, 3
	v_sub_nc_u16 v68, v34, v48
	v_sub_nc_u16 v69, v38, v47
	v_mad_u32_u24 v70, 0x1e0, v70, 0
	v_mad_u32_u24 v67, 0x1e0, v67, 0
	v_mul_u32_u24_sdwa v48, v68, v49 dst_sel:DWORD dst_unused:UNUSED_PAD src0_sel:BYTE_0 src1_sel:DWORD
	v_mul_u32_u24_sdwa v56, v69, v49 dst_sel:DWORD dst_unused:UNUSED_PAD src0_sel:BYTE_0 src1_sel:DWORD
	v_lshlrev_b32_sdwa v68, v35, v68 dst_sel:DWORD dst_unused:UNUSED_PAD src0_sel:DWORD src1_sel:BYTE_0
	v_lshlrev_b32_sdwa v69, v35, v69 dst_sel:DWORD dst_unused:UNUSED_PAD src0_sel:DWORD src1_sel:BYTE_0
	v_lshlrev_b32_e32 v55, 3, v48
	v_lshlrev_b32_e32 v65, 3, v56
	v_add3_u32 v68, v70, v68, v45
	v_add3_u32 v67, v67, v69, v45
	s_clause 0x5
	global_load_dwordx4 v[47:50], v55, s[8:9]
	global_load_dwordx4 v[51:54], v55, s[8:9] offset:16
	global_load_dwordx2 v[63:64], v55, s[8:9] offset:32
	global_load_dwordx4 v[55:58], v65, s[8:9]
	global_load_dwordx4 v[59:62], v65, s[8:9] offset:16
	global_load_dwordx2 v[65:66], v65, s[8:9] offset:32
	s_waitcnt vmcnt(0) lgkmcnt(0)
	s_barrier
	buffer_gl0_inv
	v_mul_f32_e32 v73, v64, v15
	v_mul_f32_e32 v69, v48, v31
	;; [unrolled: 1-line block ×18, first 2 shown]
	v_fmac_f32_e32 v69, v47, v30
	v_fma_f32 v30, v47, v31, -v48
	v_fmac_f32_e32 v70, v49, v22
	v_fma_f32 v22, v49, v23, -v50
	v_fma_f32 v23, v51, v27, -v52
	v_fmac_f32_e32 v72, v53, v18
	v_fma_f32 v18, v53, v19, -v54
	v_fmac_f32_e32 v73, v63, v14
	v_fma_f32 v14, v63, v15, -v64
	v_mul_f32_e32 v77, v21, v62
	v_mul_f32_e32 v62, v20, v62
	v_fmac_f32_e32 v71, v51, v26
	v_fma_f32 v26, v55, v33, -v56
	v_fma_f32 v19, v59, v29, -v60
	v_fmac_f32_e32 v78, v16, v65
	v_fma_f32 v16, v17, v65, -v66
	v_fmac_f32_e32 v74, v55, v32
	v_fmac_f32_e32 v75, v57, v24
	v_fma_f32 v15, v57, v25, -v58
	v_sub_f32_e32 v24, v22, v18
	v_add_f32_e32 v25, v40, v22
	v_add_f32_e32 v22, v22, v18
	v_sub_f32_e32 v31, v23, v14
	v_add_f32_e32 v32, v30, v23
	v_add_f32_e32 v23, v23, v14
	v_fmac_f32_e32 v76, v59, v28
	v_fmac_f32_e32 v77, v20, v61
	v_fma_f32 v20, v21, v61, -v62
	v_add_f32_e32 v21, v70, v72
	v_add_f32_e32 v29, v71, v73
	v_sub_f32_e32 v54, v19, v16
	v_add_f32_e32 v55, v26, v19
	v_add_f32_e32 v19, v19, v16
	v_add_f32_e32 v17, v39, v70
	v_sub_f32_e32 v27, v70, v72
	v_add_f32_e32 v28, v69, v71
	v_sub_f32_e32 v33, v71, v73
	v_add_f32_e32 v50, v1, v15
	v_fmac_f32_e32 v40, -0.5, v22
	v_fmac_f32_e32 v30, -0.5, v23
	v_add_f32_e32 v48, v75, v77
	v_sub_f32_e32 v49, v15, v20
	v_add_f32_e32 v15, v15, v20
	v_add_f32_e32 v53, v76, v78
	v_sub_f32_e32 v56, v76, v78
	v_fma_f32 v39, -0.5, v21, v39
	v_fmac_f32_e32 v69, -0.5, v29
	v_fmac_f32_e32 v26, -0.5, v19
	v_add_f32_e32 v17, v17, v72
	v_add_f32_e32 v18, v25, v18
	;; [unrolled: 1-line block ×6, first 2 shown]
	v_fmamk_f32 v32, v27, 0x3f5db3d7, v40
	v_fmac_f32_e32 v40, 0xbf5db3d7, v27
	v_fmamk_f32 v27, v33, 0x3f5db3d7, v30
	v_fmac_f32_e32 v30, 0xbf5db3d7, v33
	v_add_f32_e32 v47, v0, v75
	v_sub_f32_e32 v51, v75, v77
	v_add_f32_e32 v52, v74, v76
	v_fma_f32 v0, -0.5, v48, v0
	v_fmac_f32_e32 v1, -0.5, v15
	v_fmac_f32_e32 v74, -0.5, v53
	v_fmamk_f32 v29, v24, 0xbf5db3d7, v39
	v_fmac_f32_e32 v39, 0x3f5db3d7, v24
	v_fmamk_f32 v24, v31, 0xbf5db3d7, v69
	v_fmac_f32_e32 v69, 0x3f5db3d7, v31
	;; [unrolled: 2-line block ×3, first 2 shown]
	v_add_f32_e32 v14, v17, v21
	v_sub_f32_e32 v16, v17, v21
	v_add_f32_e32 v19, v25, v28
	v_sub_f32_e32 v21, v25, v28
	v_mul_f32_e32 v28, 0xbf5db3d7, v27
	v_mul_f32_e32 v27, 0.5, v27
	v_mul_f32_e32 v33, 0xbf5db3d7, v30
	v_mul_f32_e32 v30, -0.5, v30
	v_add_f32_e32 v23, v47, v77
	v_add_f32_e32 v15, v18, v22
	v_sub_f32_e32 v17, v18, v22
	v_fmamk_f32 v47, v49, 0xbf5db3d7, v0
	v_fmac_f32_e32 v0, 0x3f5db3d7, v49
	v_fmamk_f32 v48, v51, 0x3f5db3d7, v1
	v_fmac_f32_e32 v1, 0xbf5db3d7, v51
	v_fmamk_f32 v22, v54, 0xbf5db3d7, v74
	v_mul_f32_e32 v49, 0xbf5db3d7, v31
	v_mul_f32_e32 v51, 0.5, v31
	v_add_f32_e32 v20, v52, v78
	v_fmac_f32_e32 v74, 0x3f5db3d7, v54
	v_mul_f32_e32 v50, 0xbf5db3d7, v26
	v_mul_f32_e32 v52, -0.5, v26
	v_fmac_f32_e32 v28, 0.5, v24
	v_fmac_f32_e32 v27, 0x3f5db3d7, v24
	v_fmac_f32_e32 v33, -0.5, v69
	v_fmac_f32_e32 v30, 0x3f5db3d7, v69
	v_fmac_f32_e32 v49, 0.5, v22
	v_fmac_f32_e32 v51, 0x3f5db3d7, v22
	v_fmac_f32_e32 v50, -0.5, v74
	v_fmac_f32_e32 v52, 0x3f5db3d7, v74
	v_add_f32_e32 v18, v23, v20
	v_sub_f32_e32 v20, v23, v20
	v_add_f32_e32 v22, v29, v28
	v_add_f32_e32 v23, v32, v27
	;; [unrolled: 1-line block ×4, first 2 shown]
	v_sub_f32_e32 v26, v29, v28
	v_sub_f32_e32 v28, v39, v33
	;; [unrolled: 1-line block ×4, first 2 shown]
	v_add_f32_e32 v30, v47, v49
	v_add_f32_e32 v31, v48, v51
	;; [unrolled: 1-line block ×4, first 2 shown]
	v_sub_f32_e32 v39, v47, v49
	v_sub_f32_e32 v0, v0, v50
	;; [unrolled: 1-line block ×4, first 2 shown]
	ds_write2_b64 v68, v[14:15], v[22:23] offset1:10
	ds_write2_b64 v68, v[24:25], v[16:17] offset0:20 offset1:30
	ds_write2_b64 v68, v[26:27], v[28:29] offset0:40 offset1:50
	ds_write2_b64 v67, v[18:19], v[30:31] offset1:10
	ds_write2_b64 v67, v[32:33], v[20:21] offset0:20 offset1:30
	ds_write2_b64 v67, v[39:40], v[0:1] offset0:40 offset1:50
	s_and_saveexec_b32 s1, s0
	s_cbranch_execz .LBB0_19
; %bb.18:
	v_add_nc_u32_e32 v0, 0xf0, v34
	v_mov_b32_e32 v1, 0xcccd
	v_mul_u32_u24_sdwa v1, v0, v1 dst_sel:DWORD dst_unused:UNUSED_PAD src0_sel:WORD_0 src1_sel:DWORD
	v_lshrrev_b32_e32 v22, 19, v1
	v_mul_lo_u16 v1, v22, 10
	v_mul_lo_u16 v22, v22, 60
	v_sub_nc_u16 v0, v0, v1
	v_lshlrev_b32_sdwa v22, v35, v22 dst_sel:DWORD dst_unused:UNUSED_PAD src0_sel:DWORD src1_sel:WORD_0
	v_and_b32_e32 v23, 0xffff, v0
	v_mul_u32_u24_e32 v0, 5, v23
	v_lshl_add_u32 v23, v23, 3, 0
	v_lshlrev_b32_e32 v0, 3, v0
	v_add3_u32 v22, v23, v22, v45
	s_clause 0x2
	global_load_dwordx4 v[14:17], v0, s[8:9]
	global_load_dwordx4 v[18:21], v0, s[8:9] offset:16
	global_load_dwordx2 v[0:1], v0, s[8:9] offset:32
	s_waitcnt vmcnt(2)
	v_mul_f32_e32 v23, v6, v17
	s_waitcnt vmcnt(1)
	v_mul_f32_e32 v24, v10, v21
	v_mul_f32_e32 v25, v5, v15
	;; [unrolled: 1-line block ×3, first 2 shown]
	s_waitcnt vmcnt(0)
	v_mul_f32_e32 v27, v13, v1
	v_mul_f32_e32 v19, v8, v19
	;; [unrolled: 1-line block ×6, first 2 shown]
	v_fma_f32 v7, v7, v16, -v23
	v_fma_f32 v11, v11, v20, -v24
	v_fmac_f32_e32 v25, v4, v14
	v_fmac_f32_e32 v26, v8, v18
	;; [unrolled: 1-line block ×3, first 2 shown]
	v_fma_f32 v4, v9, v18, -v19
	v_fma_f32 v0, v13, v0, -v1
	v_fmac_f32_e32 v17, v6, v16
	v_fmac_f32_e32 v21, v10, v20
	v_fma_f32 v1, v5, v14, -v15
	v_add_f32_e32 v5, v7, v11
	v_add_f32_e32 v8, v26, v27
	;; [unrolled: 1-line block ×3, first 2 shown]
	v_sub_f32_e32 v6, v17, v21
	v_sub_f32_e32 v12, v26, v27
	v_add_f32_e32 v13, v3, v7
	v_add_f32_e32 v14, v17, v21
	;; [unrolled: 1-line block ×3, first 2 shown]
	v_fma_f32 v17, -0.5, v5, v3
	v_fma_f32 v5, -0.5, v8, v25
	;; [unrolled: 1-line block ×3, first 2 shown]
	v_sub_f32_e32 v9, v4, v0
	v_add_f32_e32 v16, v25, v26
	v_add_f32_e32 v3, v13, v11
	v_fma_f32 v13, -0.5, v14, v2
	v_add_f32_e32 v2, v15, v21
	v_fmamk_f32 v15, v12, 0xbf5db3d7, v8
	v_fmac_f32_e32 v8, 0x3f5db3d7, v12
	v_add_f32_e32 v4, v1, v4
	v_sub_f32_e32 v7, v7, v11
	v_add_f32_e32 v10, v16, v27
	v_fmamk_f32 v14, v9, 0x3f5db3d7, v5
	v_fmac_f32_e32 v5, 0xbf5db3d7, v9
	v_mul_f32_e32 v9, -0.5, v15
	v_mul_f32_e32 v12, 0.5, v8
	v_mul_f32_e32 v16, 0xbf5db3d7, v8
	v_mul_f32_e32 v15, 0xbf5db3d7, v15
	v_add_f32_e32 v4, v4, v0
	v_fmamk_f32 v11, v6, 0xbf5db3d7, v17
	v_fmac_f32_e32 v17, 0x3f5db3d7, v6
	v_fmamk_f32 v6, v7, 0x3f5db3d7, v13
	v_fmac_f32_e32 v13, 0xbf5db3d7, v7
	v_fmac_f32_e32 v9, 0x3f5db3d7, v14
	;; [unrolled: 1-line block ×3, first 2 shown]
	v_fmac_f32_e32 v16, 0.5, v5
	v_fmac_f32_e32 v15, -0.5, v14
	v_sub_f32_e32 v1, v3, v4
	v_sub_f32_e32 v0, v2, v10
	v_add_f32_e32 v3, v3, v4
	v_add_f32_e32 v2, v2, v10
	v_sub_f32_e32 v5, v11, v9
	v_add_f32_e32 v9, v11, v9
	v_add_f32_e32 v11, v17, v12
	;; [unrolled: 1-line block ×4, first 2 shown]
	v_sub_f32_e32 v7, v17, v12
	v_sub_f32_e32 v4, v6, v15
	;; [unrolled: 1-line block ×3, first 2 shown]
	ds_write2_b64 v22, v[2:3], v[10:11] offset1:10
	ds_write2_b64 v22, v[8:9], v[0:1] offset0:20 offset1:30
	ds_write2_b64 v22, v[6:7], v[4:5] offset0:40 offset1:50
.LBB0_19:
	s_or_b32 exec_lo, exec_lo, s1
	v_subrev_nc_u32_e32 v0, 60, v34
	v_cmp_gt_u32_e64 s0, 60, v34
	v_mov_b32_e32 v1, 0
	s_waitcnt lgkmcnt(0)
	s_barrier
	buffer_gl0_inv
	v_cndmask_b32_e64 v33, v0, v34, s0
	v_add_nc_u32_e32 v8, 0x400, v44
	v_add_nc_u32_e32 v6, 0xc00, v44
	;; [unrolled: 1-line block ×4, first 2 shown]
	v_mul_i32_i24_e32 v0, 15, v33
	v_add_nc_u32_e32 v9, 0x2400, v44
	v_add_nc_u32_e32 v7, 0x2c00, v44
	;; [unrolled: 1-line block ×3, first 2 shown]
	v_mov_b32_e32 v35, v1
	v_lshlrev_b64 v[2:3], 3, v[0:1]
	v_mov_b32_e32 v39, v1
	s_add_u32 s1, s8, 0x3bb0
	s_addc_u32 s4, s9, 0
	s_mov_b32 s5, exec_lo
	v_add_co_u32 v2, s0, s8, v2
	v_add_co_ci_u32_e64 v3, s0, s9, v3, s0
	v_cmp_lt_u32_e64 s0, 59, v34
	s_clause 0x7
	global_load_dwordx4 v[11:14], v[2:3], off offset:400
	global_load_dwordx4 v[15:18], v[2:3], off offset:416
	;; [unrolled: 1-line block ×7, first 2 shown]
	global_load_dwordx2 v[31:32], v[2:3], off offset:512
	ds_read_b64 v[83:84], v41
	ds_read_b64 v[85:86], v46
	ds_read2_b64 v[55:58], v8 offset0:112 offset1:232
	ds_read2_b64 v[59:62], v6 offset0:96 offset1:216
	;; [unrolled: 1-line block ×3, first 2 shown]
	v_cndmask_b32_e64 v0, 0, 0x3c0, s0
	ds_read2_b64 v[67:70], v10 offset0:64 offset1:184
	ds_read2_b64 v[71:74], v9 offset0:48 offset1:168
	;; [unrolled: 1-line block ×4, first 2 shown]
	v_lshlrev_b64 v[2:3], 3, v[38:39]
	s_waitcnt vmcnt(0) lgkmcnt(0)
	v_or_b32_e32 v33, v0, v33
	v_lshlrev_b64 v[0:1], 3, v[34:35]
	s_barrier
	buffer_gl0_inv
	v_lshlrev_b32_e32 v33, 3, v33
	v_add_co_u32 v35, s0, s8, v0
	v_add_co_ci_u32_e64 v87, s0, s9, v1, s0
	v_add3_u32 v33, 0, v33, v45
	v_add_co_u32 v88, s0, s8, v2
	v_add_co_ci_u32_e64 v89, s0, s9, v3, s0
	v_add_co_u32 v39, s0, 0x1800, v35
	v_add_co_ci_u32_e64 v40, s0, 0, v87, s0
	v_mul_f32_e32 v45, v12, v86
	v_mul_f32_e32 v12, v12, v85
	;; [unrolled: 1-line block ×4, first 2 shown]
	v_fmac_f32_e32 v45, v11, v85
	v_fma_f32 v85, v11, v86, -v12
	v_mul_f32_e32 v86, v16, v58
	v_fmac_f32_e32 v90, v13, v55
	v_fma_f32 v55, v13, v56, -v14
	v_mul_f32_e32 v16, v16, v57
	v_mul_f32_e32 v56, v60, v18
	v_mul_f32_e32 v18, v59, v18
	v_fmac_f32_e32 v86, v15, v57
	v_add_co_u32 v11, s0, 0x1800, v88
	v_fma_f32 v57, v15, v58, -v16
	v_mul_f32_e32 v58, v62, v20
	v_fmac_f32_e32 v56, v59, v17
	v_fma_f32 v17, v60, v17, -v18
	v_mul_f32_e32 v18, v61, v20
	v_mul_f32_e32 v20, v64, v22
	v_fmac_f32_e32 v58, v61, v19
	v_add_co_ci_u32_e64 v12, s0, 0, v89, s0
	v_fma_f32 v18, v62, v19, -v18
	v_mul_f32_e32 v19, v63, v22
	v_fmac_f32_e32 v20, v63, v21
	v_mul_f32_e32 v22, v65, v24
	v_add_nc_u32_e32 v63, 0x1800, v33
	v_add_co_u32 v13, s0, 0x2000, v35
	v_fma_f32 v19, v64, v21, -v19
	v_mul_f32_e32 v21, v66, v24
	v_mul_f32_e32 v24, v68, v26
	v_fma_f32 v22, v66, v23, -v22
	v_mul_f32_e32 v64, v72, v30
	v_mul_f32_e32 v66, v80, v54
	v_fmac_f32_e32 v21, v65, v23
	v_mul_f32_e32 v23, v67, v26
	v_mul_f32_e32 v26, v70, v28
	v_mul_f32_e32 v28, v69, v28
	v_fmac_f32_e32 v24, v67, v25
	v_mul_f32_e32 v65, v76, v50
	v_fma_f32 v23, v68, v25, -v23
	v_mul_f32_e32 v25, v71, v30
	v_mul_f32_e32 v30, v74, v48
	v_mul_f32_e32 v48, v73, v48
	v_fmac_f32_e32 v26, v69, v27
	v_fma_f32 v27, v70, v27, -v28
	v_mul_f32_e32 v28, v75, v50
	v_mul_f32_e32 v50, v78, v52
	v_mul_f32_e32 v52, v77, v52
	v_fmac_f32_e32 v64, v71, v29
	;; [unrolled: 5-line block ×3, first 2 shown]
	v_fma_f32 v47, v74, v47, -v48
	v_fmac_f32_e32 v65, v75, v49
	v_fma_f32 v28, v76, v49, -v28
	v_fmac_f32_e32 v50, v77, v51
	;; [unrolled: 2-line block ×4, first 2 shown]
	v_fma_f32 v31, v82, v31, -v32
	v_sub_f32_e32 v24, v83, v24
	v_sub_f32_e32 v23, v84, v23
	;; [unrolled: 1-line block ×16, first 2 shown]
	v_fma_f32 v53, v83, 2.0, -v24
	v_fma_f32 v54, v84, 2.0, -v23
	;; [unrolled: 1-line block ×16, first 2 shown]
	v_add_f32_e32 v28, v24, v28
	v_sub_f32_e32 v32, v23, v32
	v_add_f32_e32 v29, v49, v29
	v_sub_f32_e32 v51, v25, v51
	;; [unrolled: 2-line block ×4, first 2 shown]
	v_sub_f32_e32 v56, v53, v56
	v_sub_f32_e32 v17, v54, v17
	v_fma_f32 v24, v24, 2.0, -v28
	v_fma_f32 v23, v23, 2.0, -v32
	v_sub_f32_e32 v20, v64, v20
	v_sub_f32_e32 v19, v55, v19
	v_fma_f32 v49, v49, 2.0, -v29
	v_fma_f32 v25, v25, 2.0, -v51
	;; [unrolled: 4-line block ×4, first 2 shown]
	v_fmamk_f32 v67, v29, 0x3f3504f3, v28
	v_fmamk_f32 v68, v51, 0x3f3504f3, v32
	;; [unrolled: 1-line block ×4, first 2 shown]
	v_fma_f32 v53, v53, 2.0, -v56
	v_fma_f32 v54, v54, 2.0, -v17
	;; [unrolled: 1-line block ×8, first 2 shown]
	v_fmamk_f32 v71, v49, 0xbf3504f3, v24
	v_fmamk_f32 v72, v25, 0xbf3504f3, v23
	v_fmac_f32_e32 v67, 0x3f3504f3, v51
	v_fmamk_f32 v51, v30, 0xbf3504f3, v26
	v_fmamk_f32 v75, v47, 0xbf3504f3, v27
	v_add_f32_e32 v73, v56, v19
	v_sub_f32_e32 v74, v17, v20
	v_fmac_f32_e32 v68, 0xbf3504f3, v29
	v_add_f32_e32 v29, v58, v22
	v_sub_f32_e32 v76, v18, v21
	v_fmac_f32_e32 v69, 0x3f3504f3, v52
	v_fmac_f32_e32 v70, 0xbf3504f3, v31
	v_sub_f32_e32 v52, v53, v64
	v_sub_f32_e32 v55, v54, v55
	v_fmac_f32_e32 v71, 0x3f3504f3, v25
	v_fmac_f32_e32 v72, 0xbf3504f3, v49
	v_fma_f32 v77, v28, 2.0, -v67
	v_sub_f32_e32 v28, v45, v66
	v_sub_f32_e32 v25, v65, v57
	v_fmac_f32_e32 v51, 0x3f3504f3, v47
	v_fmac_f32_e32 v75, 0xbf3504f3, v30
	v_fma_f32 v56, v56, 2.0, -v73
	v_fma_f32 v64, v17, 2.0, -v74
	;; [unrolled: 1-line block ×7, first 2 shown]
	v_fmamk_f32 v17, v29, 0x3f3504f3, v73
	v_fmamk_f32 v18, v76, 0x3f3504f3, v74
	;; [unrolled: 1-line block ×4, first 2 shown]
	v_fma_f32 v53, v53, 2.0, -v52
	v_fma_f32 v54, v54, 2.0, -v55
	;; [unrolled: 1-line block ×8, first 2 shown]
	v_fmamk_f32 v21, v47, 0xbf3504f3, v56
	v_fmamk_f32 v22, v49, 0xbf3504f3, v64
	;; [unrolled: 1-line block ×4, first 2 shown]
	v_sub_f32_e32 v26, v55, v28
	v_fmamk_f32 v27, v51, 0x3ec3ef15, v71
	v_fmamk_f32 v28, v75, 0x3ec3ef15, v72
	v_add_f32_e32 v25, v52, v25
	v_fmac_f32_e32 v17, 0x3f3504f3, v76
	v_fmac_f32_e32 v18, 0xbf3504f3, v29
	;; [unrolled: 1-line block ×4, first 2 shown]
	v_sub_f32_e32 v29, v53, v30
	v_sub_f32_e32 v30, v54, v31
	v_fmamk_f32 v31, v45, 0xbf6c835e, v57
	v_fmamk_f32 v32, v65, 0xbf6c835e, v58
	v_fmac_f32_e32 v21, 0x3f3504f3, v49
	v_fmac_f32_e32 v22, 0xbf3504f3, v47
	;; [unrolled: 1-line block ×6, first 2 shown]
	v_add_nc_u32_e32 v60, 0x800, v33
	v_fma_f32 v47, v52, 2.0, -v25
	v_fma_f32 v49, v73, 2.0, -v17
	;; [unrolled: 1-line block ×5, first 2 shown]
	v_fmac_f32_e32 v31, 0x3ec3ef15, v65
	v_fmac_f32_e32 v32, 0xbec3ef15, v45
	v_add_nc_u32_e32 v62, 0x1000, v33
	v_add_nc_u32_e32 v88, 0x1400, v33
	v_add_co_ci_u32_e64 v14, s0, 0, v87, s0
	ds_write2_b64 v63, v[17:18], v[19:20] offset0:72 offset1:132
	v_fma_f32 v17, v53, 2.0, -v29
	v_fma_f32 v18, v54, 2.0, -v30
	;; [unrolled: 1-line block ×6, first 2 shown]
	v_add_co_u32 v15, s0, 0x2800, v35
	v_add_nc_u32_e32 v59, 0x400, v33
	v_fma_f32 v48, v55, 2.0, -v26
	v_fma_f32 v55, v71, 2.0, -v27
	;; [unrolled: 1-line block ×3, first 2 shown]
	v_add_nc_u32_e32 v61, 0xc00, v33
	v_add_co_ci_u32_e64 v16, s0, 0, v87, s0
	ds_write2_b64 v60, v[49:50], v[51:52] offset0:104 offset1:164
	ds_write2_b64 v62, v[21:22], v[23:24] offset0:88 offset1:148
	v_fma_f32 v21, v57, 2.0, -v31
	v_fma_f32 v22, v58, 2.0, -v32
	ds_write2_b64 v88, v[25:26], v[27:28] offset0:80 offset1:140
	ds_write2_b64 v33, v[19:20], v[53:54] offset0:120 offset1:180
	;; [unrolled: 1-line block ×4, first 2 shown]
	ds_write2_b64 v33, v[17:18], v[21:22] offset1:60
	s_waitcnt lgkmcnt(0)
	s_barrier
	buffer_gl0_inv
	s_clause 0x2
	global_load_dwordx2 v[39:40], v[39:40], off offset:1456
	global_load_dwordx2 v[51:52], v[11:12], off offset:1456
	;; [unrolled: 1-line block ×3, first 2 shown]
	v_add_co_u32 v11, s0, 0x3000, v35
	v_add_co_ci_u32_e64 v12, s0, 0, v87, s0
	s_clause 0x4
	global_load_dwordx2 v[55:56], v[15:16], off offset:240
	global_load_dwordx2 v[57:58], v[15:16], off offset:1200
	;; [unrolled: 1-line block ×5, first 2 shown]
	ds_read2_b64 v[10:13], v10 offset0:64 offset1:184
	ds_read2_b64 v[14:17], v9 offset0:48 offset1:168
	;; [unrolled: 1-line block ×4, first 2 shown]
	ds_read_b64 v[65:66], v41
	ds_read_b64 v[67:68], v46
	ds_read2_b64 v[26:29], v8 offset0:112 offset1:232
	ds_read2_b64 v[30:33], v6 offset0:96 offset1:216
	;; [unrolled: 1-line block ×3, first 2 shown]
	s_waitcnt vmcnt(0) lgkmcnt(0)
	s_barrier
	buffer_gl0_inv
	v_mul_f32_e32 v35, v40, v11
	v_mul_f32_e32 v40, v40, v10
	;; [unrolled: 1-line block ×16, first 2 shown]
	v_fmac_f32_e32 v35, v39, v10
	v_fma_f32 v11, v39, v11, -v40
	v_fmac_f32_e32 v45, v51, v12
	v_fma_f32 v13, v51, v13, -v52
	;; [unrolled: 2-line block ×8, first 2 shown]
	v_sub_f32_e32 v10, v65, v35
	v_sub_f32_e32 v11, v66, v11
	;; [unrolled: 1-line block ×16, first 2 shown]
	v_fma_f32 v39, v65, 2.0, -v10
	v_fma_f32 v40, v66, 2.0, -v11
	;; [unrolled: 1-line block ×16, first 2 shown]
	ds_write_b64 v44, v[10:11] offset:7680
	ds_write_b64 v44, v[39:40]
	ds_write2st64_b64 v46, v[51:52], v[12:13] offset1:15
	ds_write2_b64 v8, v[26:27], v[28:29] offset0:112 offset1:232
	ds_write2_b64 v9, v[14:15], v[16:17] offset0:48 offset1:168
	;; [unrolled: 1-line block ×6, first 2 shown]
	s_waitcnt lgkmcnt(0)
	s_barrier
	buffer_gl0_inv
	ds_read_b64 v[6:7], v41
	v_sub_nc_u32_e32 v8, v42, v43
                                        ; implicit-def: $vgpr4
                                        ; implicit-def: $vgpr9
                                        ; implicit-def: $vgpr10
	v_cmpx_ne_u32_e32 0, v34
	s_xor_b32 s5, exec_lo, s5
	s_cbranch_execz .LBB0_21
; %bb.20:
	v_add_co_u32 v4, s0, s1, v0
	v_add_co_ci_u32_e64 v5, s0, s4, v1, s0
	global_load_dwordx2 v[11:12], v[4:5], off
	ds_read_b64 v[4:5], v8 offset:15360
	s_waitcnt lgkmcnt(0)
	v_sub_f32_e32 v9, v6, v4
	v_add_f32_e32 v10, v5, v7
	v_sub_f32_e32 v5, v7, v5
	v_add_f32_e32 v4, v4, v6
	v_mul_f32_e32 v7, 0.5, v9
	v_mul_f32_e32 v6, 0.5, v10
	;; [unrolled: 1-line block ×3, first 2 shown]
	s_waitcnt vmcnt(0)
	v_mul_f32_e32 v10, v12, v7
	v_fma_f32 v13, v6, v12, v5
	v_fma_f32 v5, v6, v12, -v5
	v_fma_f32 v9, 0.5, v4, v10
	v_fma_f32 v4, v4, 0.5, -v10
	v_fma_f32 v10, -v11, v7, v13
	v_fma_f32 v5, -v11, v7, v5
	v_fmac_f32_e32 v9, v11, v6
	v_fma_f32 v4, -v11, v6, v4
                                        ; implicit-def: $vgpr6_vgpr7
.LBB0_21:
	s_andn2_saveexec_b32 s0, s5
	s_cbranch_execz .LBB0_23
; %bb.22:
	ds_read_b32 v5, v42 offset:7684
	s_waitcnt lgkmcnt(1)
	v_add_f32_e32 v9, v6, v7
	v_sub_f32_e32 v4, v6, v7
	v_mov_b32_e32 v10, 0
	s_waitcnt lgkmcnt(0)
	v_xor_b32_e32 v6, 0x80000000, v5
	v_mov_b32_e32 v5, 0
	ds_write_b32 v42, v6 offset:7684
.LBB0_23:
	s_or_b32 exec_lo, exec_lo, s0
	v_add_co_u32 v2, s0, s1, v2
	v_add_co_ci_u32_e64 v3, s0, s4, v3, s0
	s_waitcnt lgkmcnt(0)
	v_add_co_u32 v6, s0, s1, v0
	v_add_co_ci_u32_e64 v7, s0, s4, v1, s0
	global_load_dwordx2 v[2:3], v[2:3], off
	v_add_co_u32 v13, s0, 0x800, v6
	global_load_dwordx2 v[11:12], v[6:7], off offset:1920
	v_add_co_ci_u32_e64 v14, s0, 0, v7, s0
	v_add_co_u32 v17, s0, 0x1000, v6
	s_clause 0x1
	global_load_dwordx2 v[15:16], v[13:14], off offset:832
	global_load_dwordx2 v[13:14], v[13:14], off offset:1792
	v_add_co_ci_u32_e64 v18, s0, 0, v7, s0
	s_clause 0x1
	global_load_dwordx2 v[19:20], v[17:18], off offset:704
	global_load_dwordx2 v[17:18], v[17:18], off offset:1664
	v_add_co_u32 v6, s0, 0x1800, v6
	v_add_co_ci_u32_e64 v7, s0, 0, v7, s0
	ds_write2_b32 v41, v9, v10 offset1:1
	ds_write_b64 v8, v[4:5] offset:15360
	v_lshl_add_u32 v21, v38, 3, v42
	global_load_dwordx2 v[6:7], v[6:7], off offset:576
	ds_read_b64 v[4:5], v21
	ds_read_b64 v[9:10], v8 offset:14400
	s_waitcnt lgkmcnt(0)
	v_sub_f32_e32 v22, v4, v9
	v_add_f32_e32 v23, v5, v10
	v_sub_f32_e32 v5, v5, v10
	v_add_f32_e32 v4, v4, v9
	v_mul_f32_e32 v10, 0.5, v22
	v_mul_f32_e32 v22, 0.5, v23
	;; [unrolled: 1-line block ×3, first 2 shown]
	s_waitcnt vmcnt(6)
	v_mul_f32_e32 v9, v3, v10
	v_fma_f32 v23, v22, v3, v5
	v_fma_f32 v3, v22, v3, -v5
	v_fma_f32 v5, 0.5, v4, v9
	v_fma_f32 v4, v4, 0.5, -v9
	v_fma_f32 v9, -v2, v10, v23
	v_fma_f32 v3, -v2, v10, v3
	v_fmac_f32_e32 v5, v2, v22
	v_fma_f32 v2, -v2, v22, v4
	ds_write2_b32 v21, v5, v9 offset1:1
	ds_write_b64 v8, v[2:3] offset:14400
	ds_read_b64 v[2:3], v41 offset:1920
	ds_read_b64 v[4:5], v8 offset:13440
	s_waitcnt lgkmcnt(0)
	v_sub_f32_e32 v9, v2, v4
	v_add_f32_e32 v10, v3, v5
	v_sub_f32_e32 v3, v3, v5
	v_add_f32_e32 v2, v2, v4
	v_mul_f32_e32 v5, 0.5, v9
	v_mul_f32_e32 v9, 0.5, v10
	v_mul_f32_e32 v3, 0.5, v3
	s_waitcnt vmcnt(5)
	v_mul_f32_e32 v4, v12, v5
	v_fma_f32 v10, v9, v12, v3
	v_fma_f32 v3, v9, v12, -v3
	v_fma_f32 v12, 0.5, v2, v4
	v_fma_f32 v21, v2, 0.5, -v4
	v_add_nc_u32_e32 v2, 0x400, v41
	v_fma_f32 v10, -v11, v5, v10
	v_fma_f32 v4, -v11, v5, v3
	v_fmac_f32_e32 v12, v11, v9
	v_fma_f32 v3, -v11, v9, v21
	ds_write2_b32 v2, v12, v10 offset0:224 offset1:225
	ds_write_b64 v8, v[3:4] offset:13440
	ds_read_b64 v[3:4], v41 offset:2880
	ds_read_b64 v[9:10], v8 offset:12480
	s_waitcnt lgkmcnt(0)
	v_sub_f32_e32 v5, v3, v9
	v_add_f32_e32 v11, v4, v10
	v_sub_f32_e32 v4, v4, v10
	v_add_f32_e32 v3, v3, v9
	v_mul_f32_e32 v5, 0.5, v5
	v_mul_f32_e32 v10, 0.5, v11
	v_mul_f32_e32 v4, 0.5, v4
	s_waitcnt vmcnt(4)
	v_mul_f32_e32 v9, v16, v5
	v_fma_f32 v11, v10, v16, v4
	v_fma_f32 v4, v10, v16, -v4
	v_fma_f32 v12, 0.5, v3, v9
	v_fma_f32 v3, v3, 0.5, -v9
	v_add_nc_u32_e32 v9, 0x800, v41
	v_fma_f32 v11, -v15, v5, v11
	v_fma_f32 v4, -v15, v5, v4
	v_fmac_f32_e32 v12, v15, v10
	v_fma_f32 v3, -v15, v10, v3
	ds_write2_b32 v9, v12, v11 offset0:208 offset1:209
	;; [unrolled: 23-line block ×4, first 2 shown]
	ds_write_b64 v8, v[4:5] offset:10560
	ds_read_b64 v[4:5], v41 offset:5760
	ds_read_b64 v[9:10], v8 offset:9600
	s_waitcnt lgkmcnt(0)
	v_sub_f32_e32 v11, v4, v9
	v_add_f32_e32 v12, v5, v10
	v_sub_f32_e32 v5, v5, v10
	v_add_f32_e32 v4, v4, v9
	v_mul_f32_e32 v10, 0.5, v11
	v_mul_f32_e32 v11, 0.5, v12
	;; [unrolled: 1-line block ×3, first 2 shown]
	s_waitcnt vmcnt(1)
	v_mul_f32_e32 v9, v18, v10
	v_fma_f32 v12, v11, v18, v5
	v_fma_f32 v13, v11, v18, -v5
	v_add_nc_u32_e32 v5, 0x1400, v41
	v_fma_f32 v14, 0.5, v4, v9
	v_fma_f32 v4, v4, 0.5, -v9
	v_fma_f32 v12, -v17, v10, v12
	v_fma_f32 v10, -v17, v10, v13
	v_fmac_f32_e32 v14, v17, v11
	v_fma_f32 v9, -v17, v11, v4
	ds_write2_b32 v5, v14, v12 offset0:160 offset1:161
	ds_write_b64 v8, v[9:10] offset:9600
	ds_read_b64 v[9:10], v41 offset:6720
	ds_read_b64 v[11:12], v8 offset:8640
	s_waitcnt lgkmcnt(0)
	v_sub_f32_e32 v4, v9, v11
	v_add_f32_e32 v13, v10, v12
	v_sub_f32_e32 v10, v10, v12
	v_add_f32_e32 v9, v9, v11
	v_mul_f32_e32 v4, 0.5, v4
	v_mul_f32_e32 v12, 0.5, v13
	;; [unrolled: 1-line block ×3, first 2 shown]
	s_waitcnt vmcnt(0)
	v_mul_f32_e32 v11, v7, v4
	v_fma_f32 v13, v12, v7, v10
	v_fma_f32 v7, v12, v7, -v10
	v_fma_f32 v10, 0.5, v9, v11
	v_fma_f32 v9, v9, 0.5, -v11
	v_add_nc_u32_e32 v11, 0x1800, v41
	v_fma_f32 v13, -v6, v4, v13
	v_fma_f32 v7, -v6, v4, v7
	v_fmac_f32_e32 v10, v6, v12
	v_fma_f32 v6, -v6, v12, v9
	ds_write2_b32 v11, v10, v13 offset0:144 offset1:145
	ds_write_b64 v8, v[6:7] offset:8640
	s_waitcnt lgkmcnt(0)
	s_barrier
	buffer_gl0_inv
	s_and_saveexec_b32 s0, vcc_lo
	s_cbranch_execz .LBB0_26
; %bb.24:
	ds_read2_b64 v[6:9], v41 offset1:120
	ds_read2_b64 v[10:13], v2 offset0:112 offset1:232
	v_add_co_u32 v2, vcc_lo, s2, v36
	ds_read2_b64 v[14:17], v3 offset0:96 offset1:216
	ds_read2_b64 v[18:21], v5 offset0:80 offset1:200
	v_add_co_ci_u32_e32 v4, vcc_lo, s3, v37, vcc_lo
	v_add_co_u32 v0, vcc_lo, v2, v0
	v_add_nc_u32_e32 v3, 0x1c00, v41
	v_add_co_ci_u32_e32 v1, vcc_lo, v4, v1, vcc_lo
	v_add_co_u32 v22, vcc_lo, 0x800, v0
	s_waitcnt lgkmcnt(3)
	global_store_dwordx2 v[0:1], v[6:7], off
	global_store_dwordx2 v[0:1], v[8:9], off offset:960
	s_waitcnt lgkmcnt(2)
	global_store_dwordx2 v[0:1], v[10:11], off offset:1920
	v_add_co_ci_u32_e32 v23, vcc_lo, 0, v1, vcc_lo
	v_add_co_u32 v9, vcc_lo, 0x1000, v0
	v_add_co_ci_u32_e32 v10, vcc_lo, 0, v1, vcc_lo
	v_add_nc_u32_e32 v11, 0x2400, v41
	global_store_dwordx2 v[22:23], v[12:13], off offset:832
	s_waitcnt lgkmcnt(1)
	global_store_dwordx2 v[22:23], v[14:15], off offset:1792
	global_store_dwordx2 v[9:10], v[16:17], off offset:704
	ds_read2_b64 v[5:8], v3 offset0:64 offset1:184
	s_waitcnt lgkmcnt(1)
	global_store_dwordx2 v[9:10], v[18:19], off offset:1664
	ds_read2_b64 v[9:12], v11 offset0:48 offset1:168
	v_add_nc_u32_e32 v3, 0x2c00, v41
	v_add_nc_u32_e32 v19, 0x3400, v41
	v_add_co_u32 v17, vcc_lo, 0x1800, v0
	ds_read2_b64 v[13:16], v3 offset0:32 offset1:152
	ds_read2_b64 v[22:25], v19 offset0:16 offset1:136
	v_add_co_ci_u32_e32 v18, vcc_lo, 0, v1, vcc_lo
	v_add_co_u32 v26, vcc_lo, 0x2000, v0
	v_add_co_ci_u32_e32 v27, vcc_lo, 0, v1, vcc_lo
	v_add_co_u32 v28, vcc_lo, 0x2800, v0
	v_add_co_ci_u32_e32 v29, vcc_lo, 0, v1, vcc_lo
	global_store_dwordx2 v[17:18], v[20:21], off offset:576
	s_waitcnt lgkmcnt(3)
	global_store_dwordx2 v[17:18], v[5:6], off offset:1536
	global_store_dwordx2 v[26:27], v[7:8], off offset:448
	s_waitcnt lgkmcnt(2)
	global_store_dwordx2 v[26:27], v[9:10], off offset:1408
	global_store_dwordx2 v[28:29], v[11:12], off offset:320
	v_add_co_u32 v5, vcc_lo, 0x3000, v0
	v_add_co_ci_u32_e32 v6, vcc_lo, 0, v1, vcc_lo
	v_add_co_u32 v0, vcc_lo, 0x3800, v0
	v_add_co_ci_u32_e32 v1, vcc_lo, 0, v1, vcc_lo
	v_cmp_eq_u32_e32 vcc_lo, 0x77, v34
	s_waitcnt lgkmcnt(1)
	global_store_dwordx2 v[28:29], v[13:14], off offset:1280
	global_store_dwordx2 v[5:6], v[15:16], off offset:192
	s_waitcnt lgkmcnt(0)
	global_store_dwordx2 v[5:6], v[22:23], off offset:1152
	global_store_dwordx2 v[0:1], v[24:25], off offset:64
	s_and_b32 exec_lo, exec_lo, vcc_lo
	s_cbranch_execz .LBB0_26
; %bb.25:
	ds_read_b64 v[0:1], v41 offset:14408
	v_add_co_u32 v2, vcc_lo, 0x3800, v2
	v_add_co_ci_u32_e32 v3, vcc_lo, 0, v4, vcc_lo
	s_waitcnt lgkmcnt(0)
	global_store_dwordx2 v[2:3], v[0:1], off offset:1024
.LBB0_26:
	s_endpgm
	.section	.rodata,"a",@progbits
	.p2align	6, 0x0
	.amdhsa_kernel fft_rtc_back_len1920_factors_10_6_16_2_wgs_240_tpt_120_halfLds_sp_ip_CI_unitstride_sbrr_R2C_dirReg
		.amdhsa_group_segment_fixed_size 0
		.amdhsa_private_segment_fixed_size 0
		.amdhsa_kernarg_size 88
		.amdhsa_user_sgpr_count 6
		.amdhsa_user_sgpr_private_segment_buffer 1
		.amdhsa_user_sgpr_dispatch_ptr 0
		.amdhsa_user_sgpr_queue_ptr 0
		.amdhsa_user_sgpr_kernarg_segment_ptr 1
		.amdhsa_user_sgpr_dispatch_id 0
		.amdhsa_user_sgpr_flat_scratch_init 0
		.amdhsa_user_sgpr_private_segment_size 0
		.amdhsa_wavefront_size32 1
		.amdhsa_uses_dynamic_stack 0
		.amdhsa_system_sgpr_private_segment_wavefront_offset 0
		.amdhsa_system_sgpr_workgroup_id_x 1
		.amdhsa_system_sgpr_workgroup_id_y 0
		.amdhsa_system_sgpr_workgroup_id_z 0
		.amdhsa_system_sgpr_workgroup_info 0
		.amdhsa_system_vgpr_workitem_id 0
		.amdhsa_next_free_vgpr 98
		.amdhsa_next_free_sgpr 21
		.amdhsa_reserve_vcc 1
		.amdhsa_reserve_flat_scratch 0
		.amdhsa_float_round_mode_32 0
		.amdhsa_float_round_mode_16_64 0
		.amdhsa_float_denorm_mode_32 3
		.amdhsa_float_denorm_mode_16_64 3
		.amdhsa_dx10_clamp 1
		.amdhsa_ieee_mode 1
		.amdhsa_fp16_overflow 0
		.amdhsa_workgroup_processor_mode 1
		.amdhsa_memory_ordered 1
		.amdhsa_forward_progress 0
		.amdhsa_shared_vgpr_count 0
		.amdhsa_exception_fp_ieee_invalid_op 0
		.amdhsa_exception_fp_denorm_src 0
		.amdhsa_exception_fp_ieee_div_zero 0
		.amdhsa_exception_fp_ieee_overflow 0
		.amdhsa_exception_fp_ieee_underflow 0
		.amdhsa_exception_fp_ieee_inexact 0
		.amdhsa_exception_int_div_zero 0
	.end_amdhsa_kernel
	.text
.Lfunc_end0:
	.size	fft_rtc_back_len1920_factors_10_6_16_2_wgs_240_tpt_120_halfLds_sp_ip_CI_unitstride_sbrr_R2C_dirReg, .Lfunc_end0-fft_rtc_back_len1920_factors_10_6_16_2_wgs_240_tpt_120_halfLds_sp_ip_CI_unitstride_sbrr_R2C_dirReg
                                        ; -- End function
	.section	.AMDGPU.csdata,"",@progbits
; Kernel info:
; codeLenInByte = 9860
; NumSgprs: 23
; NumVgprs: 98
; ScratchSize: 0
; MemoryBound: 0
; FloatMode: 240
; IeeeMode: 1
; LDSByteSize: 0 bytes/workgroup (compile time only)
; SGPRBlocks: 2
; VGPRBlocks: 12
; NumSGPRsForWavesPerEU: 23
; NumVGPRsForWavesPerEU: 98
; Occupancy: 9
; WaveLimiterHint : 1
; COMPUTE_PGM_RSRC2:SCRATCH_EN: 0
; COMPUTE_PGM_RSRC2:USER_SGPR: 6
; COMPUTE_PGM_RSRC2:TRAP_HANDLER: 0
; COMPUTE_PGM_RSRC2:TGID_X_EN: 1
; COMPUTE_PGM_RSRC2:TGID_Y_EN: 0
; COMPUTE_PGM_RSRC2:TGID_Z_EN: 0
; COMPUTE_PGM_RSRC2:TIDIG_COMP_CNT: 0
	.text
	.p2alignl 6, 3214868480
	.fill 48, 4, 3214868480
	.type	__hip_cuid_3b2a66de6e3ca01f,@object ; @__hip_cuid_3b2a66de6e3ca01f
	.section	.bss,"aw",@nobits
	.globl	__hip_cuid_3b2a66de6e3ca01f
__hip_cuid_3b2a66de6e3ca01f:
	.byte	0                               ; 0x0
	.size	__hip_cuid_3b2a66de6e3ca01f, 1

	.ident	"AMD clang version 19.0.0git (https://github.com/RadeonOpenCompute/llvm-project roc-6.4.0 25133 c7fe45cf4b819c5991fe208aaa96edf142730f1d)"
	.section	".note.GNU-stack","",@progbits
	.addrsig
	.addrsig_sym __hip_cuid_3b2a66de6e3ca01f
	.amdgpu_metadata
---
amdhsa.kernels:
  - .args:
      - .actual_access:  read_only
        .address_space:  global
        .offset:         0
        .size:           8
        .value_kind:     global_buffer
      - .offset:         8
        .size:           8
        .value_kind:     by_value
      - .actual_access:  read_only
        .address_space:  global
        .offset:         16
        .size:           8
        .value_kind:     global_buffer
      - .actual_access:  read_only
        .address_space:  global
        .offset:         24
        .size:           8
        .value_kind:     global_buffer
      - .offset:         32
        .size:           8
        .value_kind:     by_value
      - .actual_access:  read_only
        .address_space:  global
        .offset:         40
        .size:           8
        .value_kind:     global_buffer
      - .actual_access:  read_only
        .address_space:  global
        .offset:         48
        .size:           8
        .value_kind:     global_buffer
      - .offset:         56
        .size:           4
        .value_kind:     by_value
      - .actual_access:  read_only
        .address_space:  global
        .offset:         64
        .size:           8
        .value_kind:     global_buffer
      - .actual_access:  read_only
        .address_space:  global
        .offset:         72
        .size:           8
        .value_kind:     global_buffer
      - .address_space:  global
        .offset:         80
        .size:           8
        .value_kind:     global_buffer
    .group_segment_fixed_size: 0
    .kernarg_segment_align: 8
    .kernarg_segment_size: 88
    .language:       OpenCL C
    .language_version:
      - 2
      - 0
    .max_flat_workgroup_size: 240
    .name:           fft_rtc_back_len1920_factors_10_6_16_2_wgs_240_tpt_120_halfLds_sp_ip_CI_unitstride_sbrr_R2C_dirReg
    .private_segment_fixed_size: 0
    .sgpr_count:     23
    .sgpr_spill_count: 0
    .symbol:         fft_rtc_back_len1920_factors_10_6_16_2_wgs_240_tpt_120_halfLds_sp_ip_CI_unitstride_sbrr_R2C_dirReg.kd
    .uniform_work_group_size: 1
    .uses_dynamic_stack: false
    .vgpr_count:     98
    .vgpr_spill_count: 0
    .wavefront_size: 32
    .workgroup_processor_mode: 1
amdhsa.target:   amdgcn-amd-amdhsa--gfx1030
amdhsa.version:
  - 1
  - 2
...

	.end_amdgpu_metadata
